;; amdgpu-corpus repo=zjin-lcf/HeCBench kind=compiled arch=gfx950 opt=O3
	.amdgcn_target "amdgcn-amd-amdhsa--gfx950"
	.amdhsa_code_object_version 6
	.text
	.protected	_Z9get_block15HIP_vector_typeIjLj2EEPKhPKtPKjPfS0_S0_6Params ; -- Begin function _Z9get_block15HIP_vector_typeIjLj2EEPKhPKtPKjPfS0_S0_6Params
	.globl	_Z9get_block15HIP_vector_typeIjLj2EEPKhPKtPKjPfS0_S0_6Params
	.p2align	8
	.type	_Z9get_block15HIP_vector_typeIjLj2EEPKhPKtPKjPfS0_S0_6Params,@function
_Z9get_block15HIP_vector_typeIjLj2EEPKhPKtPKjPfS0_S0_6Params: ; @_Z9get_block15HIP_vector_typeIjLj2EEPKhPKtPKjPfS0_S0_6Params
; %bb.0:
	s_load_dword s9, s[0:1], 0x4c
	s_load_dwordx2 s[4:5], s[0:1], 0x0
	s_load_dwordx2 s[6:7], s[0:1], 0x30
	s_waitcnt lgkmcnt(0)
	s_mul_i32 s8, s9, s2
	s_add_i32 s4, s8, s4
	s_mul_i32 s8, s9, s3
	s_add_i32 s8, s8, s5
	s_add_i32 s5, s7, -1
	s_add_i32 s10, s5, s9
	s_cmp_lt_u32 s8, s10
	s_cselect_b32 s5, s5, s8
	s_cmp_lt_u32 s8, s7
	s_cselect_b32 s8, s8, s5
	s_add_i32 s5, s6, -1
	s_add_i32 s9, s5, s9
	s_cmp_lt_u32 s4, s9
	s_cselect_b32 s5, s5, s4
	s_cmp_lt_u32 s4, s6
	s_cselect_b32 s9, s4, s5
	s_cmp_ge_u32 s9, s6
	s_cselect_b64 s[4:5], -1, 0
	s_cmp_ge_u32 s8, s7
	s_cselect_b64 s[6:7], -1, 0
	s_or_b64 s[4:5], s[4:5], s[6:7]
	s_and_b64 vcc, exec, s[4:5]
	s_cbranch_vccnz .LBB0_11
; %bb.1:
	s_load_dwordx2 s[4:5], s[0:1], 0x8
	s_load_dwordx4 s[16:19], s[0:1], 0x18
	s_load_dword s14, s[0:1], 0x28
	s_load_dwordx2 s[6:7], s[0:1], 0x3c
	s_load_dword s10, s[0:1], 0x58
	v_and_b32_e32 v4, 0x3ff, v0
	v_bfe_u32 v10, v0, 10, 10
	v_add_u32_e32 v2, s9, v4
	v_add_u32_e32 v0, s8, v10
	s_waitcnt lgkmcnt(0)
	v_mad_u64_u32 v[6:7], s[8:9], v0, s14, v[2:3]
	global_load_ubyte v1, v6, s[4:5]
	s_mul_i32 s3, s10, s3
	s_mul_i32 s15, s6, s6
	s_add_i32 s8, s7, 1
	s_add_i32 s10, s3, s2
	s_mul_i32 s2, s15, s8
	s_mov_b32 s9, 0
	s_mul_i32 s8, s2, s10
	s_lshl_b64 s[2:3], s[8:9], 2
	s_mov_b32 s11, s9
	s_add_u32 s2, s18, s2
	s_addc_u32 s3, s19, s3
	s_lshl_b64 s[12:13], s[10:11], 2
	s_add_u32 s12, s16, s12
	s_addc_u32 s13, s17, s13
	s_load_dword s16, s[12:13], 0x0
	v_mad_u64_u32 v[6:7], s[12:13], s6, v10, v[4:5]
	v_mov_b32_e32 v7, 0
	v_lshl_add_u64 v[8:9], v[6:7], 2, s[2:3]
	s_waitcnt lgkmcnt(0)
	s_cmp_eq_u32 s16, 0
	s_waitcnt vmcnt(0)
	v_cvt_f32_ubyte0_e32 v1, v1
	global_store_dword v[8:9], v1, off
	s_cbranch_scc1 .LBB0_11
; %bb.2:
	s_load_dwordx2 s[0:1], s[0:1], 0x10
	s_cmp_lt_u32 s16, 14
	s_cselect_b64 s[12:13], -1, 0
	s_mul_i32 s8, s10, s7
	s_and_b64 vcc, exec, s[12:13]
	s_cbranch_vccnz .LBB0_8
; %bb.3:
	v_add_u32_e32 v1, s6, v10
	v_mad_u64_u32 v[8:9], s[10:11], s6, v1, v[4:5]
	s_add_i32 s7, s16, -1
	s_abs_i32 s10, s15
	s_mul_i32 s12, s10, s7
	s_mul_hi_u32 s10, s10, s7
	s_cmp_eq_u32 s10, 0
	s_cselect_b64 s[10:11], -1, 0
	s_not_b32 s13, s15
	s_ashr_i32 s13, s13, 31
	v_xor_b32_e32 v1, s13, v8
	v_cmp_le_u32_e32 vcc, s12, v1
	s_mov_b32 s7, 0
	s_and_b64 s[18:19], vcc, s[10:11]
	s_mov_b64 s[12:13], -1
	v_mov_b32_e32 v7, 0
	s_and_saveexec_b64 s[10:11], s[18:19]
	s_cbranch_execz .LBB0_7
; %bb.4:
	s_lshl_b64 s[12:13], s[8:9], 1
	s_waitcnt lgkmcnt(0)
	s_add_u32 s12, s0, s12
	s_addc_u32 s13, s1, s13
	s_and_b32 s18, s16, -2
	s_mov_b32 s17, 1
	v_mov_b32_e32 v1, v0
	s_mov_b32 s19, s14
	v_mov_b32_e32 v3, v2
	s_mov_b32 s20, s15
	v_mov_b32_e32 v5, v6
	v_mov_b32_e32 v9, 0
	s_mov_b32 s21, s18
.LBB0_5:                                ; =>This Inner Loop Header: Depth=1
	global_load_dword v7, v9, s[12:13]
	v_mov_b32_e32 v13, v9
	s_add_i32 s22, s17, 1
	s_add_i32 s23, s7, 1
	;; [unrolled: 1-line block ×4, first 2 shown]
	s_add_i32 s21, s21, -2
	s_mul_i32 s23, s15, s23
	s_add_u32 s12, s12, 4
	s_mul_i32 s22, s20, s22
	s_addc_u32 s13, s13, 0
	s_cmp_lg_u32 s21, 0
	s_waitcnt vmcnt(0)
	v_bfe_i32 v8, v7, 0, 8
	v_bfe_i32 v11, v7, 16, 8
	v_pk_lshrrev_b16 v7, 8, v7 op_sel_hi:[0,1]
	v_add_u32_sdwa v12, v1, sext(v7) dst_sel:DWORD dst_unused:UNUSED_PAD src0_sel:DWORD src1_sel:BYTE_2
	v_add_u32_sdwa v7, v0, sext(v7) dst_sel:DWORD dst_unused:UNUSED_PAD src0_sel:DWORD src1_sel:BYTE_0
	v_mul_lo_u32 v12, v12, s19
	v_mul_lo_u32 v7, v7, s14
	v_add3_u32 v12, v3, v11, v12
	v_add3_u32 v8, v2, v8, v7
	v_lshl_add_u64 v[12:13], s[4:5], 0, v[12:13]
	v_lshl_add_u64 v[14:15], s[4:5], 0, v[8:9]
	global_load_ubyte v7, v[12:13], off
	global_load_ubyte v11, v[14:15], off
	v_add_u32_e32 v8, s23, v6
	v_mov_b32_e32 v13, v9
	v_add_u32_e32 v12, s22, v5
	v_lshl_add_u64 v[14:15], v[8:9], 2, s[2:3]
	v_lshl_add_u64 v[12:13], v[12:13], 2, s[2:3]
	s_waitcnt vmcnt(1)
	v_cvt_f32_ubyte0_e32 v7, v7
	s_waitcnt vmcnt(0)
	v_cvt_f32_ubyte0_e32 v8, v11
	global_store_dword v[14:15], v8, off
	global_store_dword v[12:13], v7, off
	s_cbranch_scc1 .LBB0_5
; %bb.6:
	s_cmp_lg_u32 s16, s18
	s_cselect_b64 s[12:13], -1, 0
	v_mov_b32_e32 v7, s18
	s_orn2_b64 s[12:13], s[12:13], exec
.LBB0_7:
	s_or_b64 exec, exec, s[10:11]
.LBB0_8:
	s_and_saveexec_b64 s[10:11], s[12:13]
	s_cbranch_execz .LBB0_11
; %bb.9:
	v_mul_lo_u32 v3, s6, v7
	v_add3_u32 v3, v3, s6, v10
	v_mad_u64_u32 v[8:9], s[6:7], s6, v3, v[4:5]
	s_lshl_b64 s[6:7], s[8:9], 1
	s_waitcnt lgkmcnt(0)
	s_add_u32 s0, s0, s6
	v_mov_b32_e32 v5, 0
	v_mov_b32_e32 v4, v7
	s_addc_u32 s1, s1, s7
	v_sub_u32_e32 v1, s16, v7
	v_lshl_add_u64 v[6:7], v[4:5], 1, s[0:1]
	s_mov_b64 s[0:1], 0
	v_mov_b32_e32 v4, v8
.LBB0_10:                               ; =>This Inner Loop Header: Depth=1
	global_load_ushort v3, v[6:7], off
	v_add_u32_e32 v1, -1, v1
	v_cmp_eq_u32_e32 vcc, 0, v1
	v_lshl_add_u64 v[6:7], v[6:7], 0, 2
	s_or_b64 s[0:1], vcc, s[0:1]
	s_waitcnt vmcnt(0)
	v_bfe_i32 v8, v3, 0, 8
	v_lshrrev_b16_e32 v3, 8, v3
	v_add_u32_sdwa v3, v0, sext(v3) dst_sel:DWORD dst_unused:UNUSED_PAD src0_sel:DWORD src1_sel:BYTE_0
	v_mul_lo_u32 v3, v3, s14
	v_add3_u32 v3, v2, v8, v3
	global_load_ubyte v3, v3, s[4:5]
	v_lshl_add_u64 v[8:9], v[4:5], 2, s[2:3]
	v_add_u32_e32 v4, s15, v4
	s_waitcnt vmcnt(0)
	v_cvt_f32_ubyte0_e32 v3, v3
	global_store_dword v[8:9], v3, off
	s_andn2_b64 exec, exec, s[0:1]
	s_cbranch_execnz .LBB0_10
.LBB0_11:
	s_endpgm
	.section	.rodata,"a",@progbits
	.p2align	6, 0x0
	.amdhsa_kernel _Z9get_block15HIP_vector_typeIjLj2EEPKhPKtPKjPfS0_S0_6Params
		.amdhsa_group_segment_fixed_size 0
		.amdhsa_private_segment_fixed_size 0
		.amdhsa_kernarg_size 344
		.amdhsa_user_sgpr_count 2
		.amdhsa_user_sgpr_dispatch_ptr 0
		.amdhsa_user_sgpr_queue_ptr 0
		.amdhsa_user_sgpr_kernarg_segment_ptr 1
		.amdhsa_user_sgpr_dispatch_id 0
		.amdhsa_user_sgpr_kernarg_preload_length 0
		.amdhsa_user_sgpr_kernarg_preload_offset 0
		.amdhsa_user_sgpr_private_segment_size 0
		.amdhsa_uses_dynamic_stack 0
		.amdhsa_enable_private_segment 0
		.amdhsa_system_sgpr_workgroup_id_x 1
		.amdhsa_system_sgpr_workgroup_id_y 1
		.amdhsa_system_sgpr_workgroup_id_z 0
		.amdhsa_system_sgpr_workgroup_info 0
		.amdhsa_system_vgpr_workitem_id 1
		.amdhsa_next_free_vgpr 16
		.amdhsa_next_free_sgpr 24
		.amdhsa_accum_offset 16
		.amdhsa_reserve_vcc 1
		.amdhsa_float_round_mode_32 0
		.amdhsa_float_round_mode_16_64 0
		.amdhsa_float_denorm_mode_32 3
		.amdhsa_float_denorm_mode_16_64 3
		.amdhsa_dx10_clamp 1
		.amdhsa_ieee_mode 1
		.amdhsa_fp16_overflow 0
		.amdhsa_tg_split 0
		.amdhsa_exception_fp_ieee_invalid_op 0
		.amdhsa_exception_fp_denorm_src 0
		.amdhsa_exception_fp_ieee_div_zero 0
		.amdhsa_exception_fp_ieee_overflow 0
		.amdhsa_exception_fp_ieee_underflow 0
		.amdhsa_exception_fp_ieee_inexact 0
		.amdhsa_exception_int_div_zero 0
	.end_amdhsa_kernel
	.text
.Lfunc_end0:
	.size	_Z9get_block15HIP_vector_typeIjLj2EEPKhPKtPKjPfS0_S0_6Params, .Lfunc_end0-_Z9get_block15HIP_vector_typeIjLj2EEPKhPKtPKjPfS0_S0_6Params
                                        ; -- End function
	.set _Z9get_block15HIP_vector_typeIjLj2EEPKhPKtPKjPfS0_S0_6Params.num_vgpr, 16
	.set _Z9get_block15HIP_vector_typeIjLj2EEPKhPKtPKjPfS0_S0_6Params.num_agpr, 0
	.set _Z9get_block15HIP_vector_typeIjLj2EEPKhPKtPKjPfS0_S0_6Params.numbered_sgpr, 24
	.set _Z9get_block15HIP_vector_typeIjLj2EEPKhPKtPKjPfS0_S0_6Params.num_named_barrier, 0
	.set _Z9get_block15HIP_vector_typeIjLj2EEPKhPKtPKjPfS0_S0_6Params.private_seg_size, 0
	.set _Z9get_block15HIP_vector_typeIjLj2EEPKhPKtPKjPfS0_S0_6Params.uses_vcc, 1
	.set _Z9get_block15HIP_vector_typeIjLj2EEPKhPKtPKjPfS0_S0_6Params.uses_flat_scratch, 0
	.set _Z9get_block15HIP_vector_typeIjLj2EEPKhPKtPKjPfS0_S0_6Params.has_dyn_sized_stack, 0
	.set _Z9get_block15HIP_vector_typeIjLj2EEPKhPKtPKjPfS0_S0_6Params.has_recursion, 0
	.set _Z9get_block15HIP_vector_typeIjLj2EEPKhPKtPKjPfS0_S0_6Params.has_indirect_call, 0
	.section	.AMDGPU.csdata,"",@progbits
; Kernel info:
; codeLenInByte = 908
; TotalNumSgprs: 30
; NumVgprs: 16
; NumAgprs: 0
; TotalNumVgprs: 16
; ScratchSize: 0
; MemoryBound: 0
; FloatMode: 240
; IeeeMode: 1
; LDSByteSize: 0 bytes/workgroup (compile time only)
; SGPRBlocks: 3
; VGPRBlocks: 1
; NumSGPRsForWavesPerEU: 30
; NumVGPRsForWavesPerEU: 16
; AccumOffset: 16
; Occupancy: 8
; WaveLimiterHint : 1
; COMPUTE_PGM_RSRC2:SCRATCH_EN: 0
; COMPUTE_PGM_RSRC2:USER_SGPR: 2
; COMPUTE_PGM_RSRC2:TRAP_HANDLER: 0
; COMPUTE_PGM_RSRC2:TGID_X_EN: 1
; COMPUTE_PGM_RSRC2:TGID_Y_EN: 1
; COMPUTE_PGM_RSRC2:TGID_Z_EN: 0
; COMPUTE_PGM_RSRC2:TIDIG_COMP_CNT: 1
; COMPUTE_PGM_RSRC3_GFX90A:ACCUM_OFFSET: 3
; COMPUTE_PGM_RSRC3_GFX90A:TG_SPLIT: 0
	.text
	.protected	_Z19hard_treshold_block15HIP_vector_typeIjLj2EEPfS1_PKjS0_6Paramsj ; -- Begin function _Z19hard_treshold_block15HIP_vector_typeIjLj2EEPfS1_PKjS0_6Paramsj
	.globl	_Z19hard_treshold_block15HIP_vector_typeIjLj2EEPfS1_PKjS0_6Paramsj
	.p2align	8
	.type	_Z19hard_treshold_block15HIP_vector_typeIjLj2EEPfS1_PKjS0_6Paramsj,@function
_Z19hard_treshold_block15HIP_vector_typeIjLj2EEPfS1_PKjS0_6Paramsj: ; @_Z19hard_treshold_block15HIP_vector_typeIjLj2EEPfS1_PKjS0_6Paramsj
; %bb.0:
	s_load_dwordx4 s[8:11], s[0:1], 0x3c
	s_load_dwordx2 s[4:5], s[0:1], 0x0
	s_load_dwordx2 s[6:7], s[0:1], 0x20
	s_waitcnt lgkmcnt(0)
	s_mul_i32 s11, s8, s2
	s_add_i32 s11, s11, s4
	s_mul_i32 s4, s8, s3
	s_add_i32 s12, s4, s5
	s_add_i32 s4, s7, -1
	s_add_i32 s5, s4, s8
	s_cmp_lt_u32 s12, s5
	s_cselect_b32 s13, s4, s12
	s_add_i32 s4, s6, -1
	s_add_i32 s5, s4, s8
	s_cmp_lt_u32 s11, s5
	s_cselect_b32 s4, s4, s11
	s_min_u32 s4, s11, s4
	s_cmp_lt_u32 s4, s6
	s_cselect_b64 s[4:5], -1, 0
	s_min_u32 s6, s12, s13
	s_cmp_lt_u32 s6, s7
	s_cselect_b64 s[6:7], -1, 0
	s_and_b64 s[4:5], s[4:5], s[6:7]
	s_andn2_b64 vcc, exec, s[4:5]
	s_cbranch_vccnz .LBB1_71
; %bb.1:
	s_load_dword s4, s[0:1], 0x54
	s_mov_b32 s13, 0
	v_and_b32_e32 v1, 0x3ff, v0
	v_bfe_u32 v0, v0, 10, 10
	s_mov_b32 s17, s13
	s_waitcnt lgkmcnt(0)
	s_lshr_b32 s24, s4, 16
	s_and_b32 s23, s4, 0xffff
	s_load_dwordx2 s[14:15], s[0:1], 0x8
	s_load_dword s6, s[0:1], 0x48
	s_load_dwordx2 s[4:5], s[0:1], 0x18
	s_load_dword s7, s[0:1], 0x30
	s_mul_i32 s22, s24, s23
	v_mad_u32_u24 v2, v0, s23, v1
	s_waitcnt lgkmcnt(0)
	s_mul_i32 s3, s6, s3
	s_add_i32 s12, s3, s2
	s_add_i32 s8, s7, 1
	s_lshl_b64 s[6:7], s[12:13], 2
	s_add_u32 s2, s4, s6
	s_addc_u32 s3, s5, s7
	s_load_dword s26, s[2:3], 0x0
	s_mul_i32 s2, s8, s22
	s_mul_i32 s16, s2, s12
	s_lshl_b64 s[16:17], s[16:17], 2
	v_mov_b32_e32 v1, 0
	s_waitcnt lgkmcnt(0)
	v_add_co_u32_e64 v0, s[4:5], s26, 1
	s_xor_b64 s[2:3], s[4:5], -1
	s_add_i32 s8, s26, 2
	s_add_u32 s14, s14, s16
	v_readfirstlane_b32 s25, v0
	v_mul_lo_u32 v3, s8, v2
	s_addc_u32 s15, s15, s17
	v_lshlrev_b32_e32 v0, 2, v2
	v_lshl_add_u32 v4, v3, 2, 0
	v_lshl_add_u64 v[0:1], s[14:15], 0, v[0:1]
	s_and_b64 vcc, exec, s[4:5]
	s_cbranch_vccnz .LBB1_10
; %bb.2:
	s_cmp_lt_u32 s25, 22
	s_cselect_b64 s[14:15], -1, 0
	s_and_b64 vcc, exec, s[14:15]
	s_cbranch_vccnz .LBB1_7
; %bb.3:
	s_cmp_lt_i32 s22, 0
	s_cselect_b64 s[14:15], -1, 0
	s_abs_i32 s8, s22
	s_mul_i32 s11, s8, s26
	s_mul_hi_u32 s8, s8, s26
	s_cmp_lg_u32 s8, 0
	s_cselect_b64 s[16:17], -1, 0
	s_cmp_lg_u32 s11, 0
	s_cselect_b64 s[18:19], -1, 0
	s_and_b64 s[14:15], s[14:15], s[18:19]
	s_or_b64 s[16:17], s[14:15], s[16:17]
	s_mov_b64 s[14:15], -1
	s_andn2_b64 vcc, exec, s[16:17]
	s_mov_b32 s8, 1
	s_cbranch_vccz .LBB1_7
; %bb.4:
	s_and_b32 s13, s25, -2
	s_mov_b32 s11, s22
	s_mov_b32 s15, 0
	v_mov_b32_e32 v5, v4
	s_mov_b32 s12, s13
	s_mov_b32 s16, 0
.LBB1_5:                                ; =>This Inner Loop Header: Depth=1
	s_mul_i32 s14, s16, s22
	s_mul_i32 s18, s8, s11
	s_mov_b32 s19, s15
	v_lshl_add_u64 v[6:7], s[14:15], 2, v[0:1]
	v_lshl_add_u64 v[8:9], s[18:19], 2, v[0:1]
	global_load_dword v10, v[6:7], off
	global_load_dword v11, v[8:9], off
	s_add_i32 s16, s16, 2
	s_add_i32 s8, s8, 2
	s_add_i32 s12, s12, -2
	s_cmp_lg_u32 s12, 0
	s_waitcnt vmcnt(0)
	ds_write2_b32 v5, v10, v11 offset1:1
	v_add_u32_e32 v5, 8, v5
	s_cbranch_scc1 .LBB1_5
; %bb.6:
	s_cmp_lg_u32 s25, s13
	s_cselect_b64 s[14:15], -1, 0
.LBB1_7:
	s_and_b64 vcc, exec, s[14:15]
	s_cbranch_vccz .LBB1_10
; %bb.8:
	s_mul_i32 s11, s13, s24
	s_mul_i32 s12, s11, s23
	s_lshl_b32 s11, s13, 2
	s_add_i32 s11, s11, 0
	s_sub_i32 s8, s25, s13
	s_mov_b32 s13, 0
	v_lshl_add_u32 v5, v3, 2, s11
.LBB1_9:                                ; =>This Inner Loop Header: Depth=1
	v_lshl_add_u64 v[6:7], s[12:13], 2, v[0:1]
	global_load_dword v6, v[6:7], off
	s_add_i32 s8, s8, -1
	s_add_i32 s12, s12, s22
	s_cmp_eq_u32 s8, 0
	s_waitcnt vmcnt(0)
	ds_write_b32 v5, v6
	v_add_u32_e32 v5, 4, v5
	s_cbranch_scc0 .LBB1_9
.LBB1_10:
	s_flbit_i32_b32 s8, s25
	s_xor_b32 s8, s8, 31
	s_and_b64 s[4:5], exec, s[4:5]
	s_cselect_b32 s27, -1, s8
	s_cmp_lg_u32 s27, 0
	v_cndmask_b32_e64 v5, 0, 1, s[2:3]
	s_cselect_b64 s[12:13], -1, 0
	s_cmp_eq_u32 s27, 0
	v_cmp_ne_u32_e64 s[2:3], 1, v5
	s_cbranch_scc1 .LBB1_25
; %bb.11:
	s_mov_b32 s8, 0
	v_lshl_add_u32 v5, v3, 2, 0
	s_branch .LBB1_13
.LBB1_12:                               ;   in Loop: Header=BB1_13 Depth=1
	s_add_i32 s8, s8, 1
	s_cmp_eq_u32 s8, s27
	s_cbranch_scc1 .LBB1_25
.LBB1_13:                               ; =>This Loop Header: Depth=1
                                        ;     Child Loop BB1_16 Depth 2
                                        ;       Child Loop BB1_19 Depth 3
                                        ;       Child Loop BB1_24 Depth 3
	s_and_b64 vcc, exec, s[2:3]
	s_cbranch_vccnz .LBB1_12
; %bb.14:                               ;   in Loop: Header=BB1_13 Depth=1
	s_lshl_b32 s11, 1, s8
	s_lshl_b32 s28, 2, s8
	;; [unrolled: 1-line block ×4, first 2 shown]
	s_cmp_lt_u32 s8, 4
	s_bfm_b32 s16, s8, 0
	s_cselect_b64 s[4:5], -1, 0
	s_cmp_gt_u32 s8, 3
	s_cselect_b64 s[14:15], -1, 0
	s_cmp_gt_u32 s16, 0x3fffffff
	s_cselect_b64 s[16:17], -1, 0
	v_add_u32_e32 v6, s29, v4
	v_lshl_add_u32 v7, 4, s8, v5
	s_bfm_b32 s31, s8, 2
	s_and_b32 s33, s11, 0x7ffffffe
	s_lshl_b32 s34, s28, 2
	s_mov_b32 s35, 0
	s_xor_b64 s[16:17], s[16:17], -1
	v_mov_b32_e32 v8, v4
	s_mov_b32 s36, 0
	s_branch .LBB1_16
.LBB1_15:                               ;   in Loop: Header=BB1_16 Depth=2
	s_or_b64 exec, exec, s[18:19]
	s_add_i32 s36, s36, s28
	s_add_i32 s35, s35, 1
	v_add_u32_e32 v8, s34, v8
	s_cmp_ge_u32 s36, s25
	v_add_u32_e32 v6, s34, v6
	s_cbranch_scc1 .LBB1_12
.LBB1_16:                               ;   Parent Loop BB1_13 Depth=1
                                        ; =>  This Loop Header: Depth=2
                                        ;       Child Loop BB1_19 Depth 3
                                        ;       Child Loop BB1_24 Depth 3
	s_and_b64 vcc, exec, s[14:15]
	s_mov_b64 s[20:21], s[4:5]
	s_cbranch_vccz .LBB1_22
; %bb.17:                               ;   in Loop: Header=BB1_16 Depth=2
	s_mul_i32 s18, s30, s35
	v_add_u32_e32 v9, s18, v7
	v_add_u32_e32 v10, s31, v9
	v_cmp_ge_u32_e32 vcc, v10, v9
	s_mov_b64 s[20:21], -1
	s_and_b64 s[38:39], vcc, s[16:17]
	s_and_saveexec_b64 s[18:19], s[38:39]
	s_cbranch_execz .LBB1_21
; %bb.18:                               ;   in Loop: Header=BB1_16 Depth=2
	v_mov_b32_e32 v9, v8
	s_mov_b32 s20, s33
.LBB1_19:                               ;   Parent Loop BB1_13 Depth=1
                                        ;     Parent Loop BB1_16 Depth=2
                                        ; =>    This Inner Loop Header: Depth=3
	v_add_u32_e32 v16, s29, v9
	ds_read2_b32 v[10:11], v9 offset1:1
	ds_read2_b32 v[12:13], v16 offset1:1
	s_add_i32 s20, s20, -2
	s_cmp_eq_u32 s20, 0
	s_waitcnt lgkmcnt(0)
	v_pk_add_f32 v[14:15], v[10:11], v[12:13]
	v_pk_add_f32 v[10:11], v[10:11], v[12:13] neg_lo:[0,1] neg_hi:[0,1]
	ds_write2_b32 v9, v14, v15 offset1:1
	ds_write2_b32 v16, v10, v11 offset1:1
	v_add_u32_e32 v9, 8, v9
	s_cbranch_scc0 .LBB1_19
; %bb.20:                               ;   in Loop: Header=BB1_16 Depth=2
	s_xor_b64 s[20:21], exec, -1
.LBB1_21:                               ;   in Loop: Header=BB1_16 Depth=2
	s_or_b64 exec, exec, s[18:19]
.LBB1_22:                               ;   in Loop: Header=BB1_16 Depth=2
	s_and_saveexec_b64 s[18:19], s[20:21]
	s_cbranch_execz .LBB1_15
; %bb.23:                               ;   in Loop: Header=BB1_16 Depth=2
	s_mov_b32 s20, 0
	s_mov_b32 s21, s11
.LBB1_24:                               ;   Parent Loop BB1_13 Depth=1
                                        ;     Parent Loop BB1_16 Depth=2
                                        ; =>    This Inner Loop Header: Depth=3
	v_add_u32_e32 v9, s20, v8
	v_add_u32_e32 v10, s20, v6
	ds_read_b32 v11, v9
	ds_read_b32 v12, v10
	s_add_i32 s21, s21, -1
	s_add_i32 s20, s20, 4
	s_cmp_eq_u32 s21, 0
	s_waitcnt lgkmcnt(0)
	v_add_f32_e32 v13, v11, v12
	v_sub_f32_e32 v11, v11, v12
	ds_write_b32 v9, v13
	ds_write_b32 v10, v11
	s_cbranch_scc0 .LBB1_24
	s_branch .LBB1_15
.LBB1_25:
	s_and_b64 vcc, exec, s[2:3]
	v_mov_b32_e32 v5, 0
	s_cbranch_vccnz .LBB1_41
; %bb.26:
	s_mul_i32 s4, s25, s10
	v_cvt_f32_u32_e32 v5, s4
	s_mov_b32 s4, 0xf800000
	s_cmp_eq_u32 s26, 0
	s_mov_b32 s14, 0
	v_mul_f32_e32 v6, 0x4f800000, v5
	v_cmp_gt_f32_e32 vcc, s4, v5
	s_nop 1
	v_cndmask_b32_e32 v5, v5, v6, vcc
	v_sqrt_f32_e32 v6, v5
	s_nop 0
	v_add_u32_e32 v7, -1, v6
	v_add_u32_e32 v8, 1, v6
	v_fma_f32 v9, -v7, v6, v5
	v_fma_f32 v10, -v8, v6, v5
	v_cmp_ge_f32_e64 s[4:5], 0, v9
	s_nop 1
	v_cndmask_b32_e64 v6, v6, v7, s[4:5]
	v_cmp_lt_f32_e64 s[4:5], 0, v10
	s_nop 1
	v_cndmask_b32_e64 v6, v6, v8, s[4:5]
	v_mul_f32_e32 v7, 0x37800000, v6
	v_cndmask_b32_e32 v6, v6, v7, vcc
	v_mov_b32_e32 v7, 0x260
	v_cmp_class_f32_e32 vcc, v5, v7
	s_nop 1
	v_cndmask_b32_e32 v5, v6, v5, vcc
	v_mul_f32_e32 v6, s9, v5
	v_mov_b32_e32 v5, 0
	s_cbranch_scc1 .LBB1_34
; %bb.27:
	s_and_b32 s14, s25, -2
	v_mov_b32_e32 v5, 0
	v_mov_b32_e32 v7, v4
	s_mov_b32 s15, s14
	v_mov_b32_e32 v8, 0
	v_mov_b32_e32 v9, 0
	s_branch .LBB1_29
.LBB1_28:                               ;   in Loop: Header=BB1_29 Depth=1
	s_or_b64 exec, exec, s[10:11]
	s_xor_b64 s[8:9], s[8:9], -1
	s_xor_b64 s[4:5], s[4:5], -1
	v_cndmask_b32_e64 v10, 0, 1, s[8:9]
	v_cndmask_b32_e64 v11, 0, 1, s[4:5]
	s_add_i32 s15, s15, -2
	v_add_u32_e32 v8, v8, v11
	v_add_u32_e32 v9, v9, v10
	s_cmp_lg_u32 s15, 0
	v_add_u32_e32 v7, 8, v7
	s_cbranch_scc0 .LBB1_33
.LBB1_29:                               ; =>This Inner Loop Header: Depth=1
	ds_read2_b32 v[10:11], v7 offset1:1
	s_waitcnt lgkmcnt(0)
	v_cmp_lt_f32_e64 s[8:9], |v11|, v6
	v_cmp_lt_f32_e64 s[4:5], |v10|, v6
	s_and_saveexec_b64 s[10:11], s[4:5]
; %bb.30:                               ;   in Loop: Header=BB1_29 Depth=1
	ds_write_b32 v7, v5
; %bb.31:                               ;   in Loop: Header=BB1_29 Depth=1
	s_or_b64 exec, exec, s[10:11]
	s_and_saveexec_b64 s[10:11], s[8:9]
	s_cbranch_execz .LBB1_28
; %bb.32:                               ;   in Loop: Header=BB1_29 Depth=1
	ds_write_b32 v7, v5 offset:4
	s_branch .LBB1_28
.LBB1_33:
	s_cmp_lg_u32 s25, s14
	v_add_u32_e32 v5, v8, v9
	s_cselect_b64 s[4:5], -1, 0
	s_and_b64 vcc, exec, s[4:5]
	s_cbranch_vccnz .LBB1_35
	s_branch .LBB1_41
.LBB1_34:
	s_cbranch_execz .LBB1_41
.LBB1_35:
	s_lshl_b32 s4, s14, 2
	s_add_i32 s4, s4, 0
	s_sub_i32 s8, s25, s14
	v_lshl_add_u32 v7, v3, 2, s4
	v_mov_b32_e32 v8, 0
	s_branch .LBB1_37
.LBB1_36:                               ;   in Loop: Header=BB1_37 Depth=1
	s_or_b64 exec, exec, s[4:5]
	s_add_i32 s8, s8, -1
	s_cmp_eq_u32 s8, 0
	v_add_u32_e32 v7, 4, v7
	s_cbranch_scc1 .LBB1_41
.LBB1_37:                               ; =>This Inner Loop Header: Depth=1
	ds_read_b32 v9, v7
	s_waitcnt lgkmcnt(0)
	v_cmp_nlt_f32_e64 s[4:5], |v9|, v6
	s_and_saveexec_b64 s[10:11], s[4:5]
	s_xor_b64 s[4:5], exec, s[10:11]
; %bb.38:                               ;   in Loop: Header=BB1_37 Depth=1
	v_add_u32_e32 v5, 1, v5
; %bb.39:                               ;   in Loop: Header=BB1_37 Depth=1
	s_andn2_saveexec_b64 s[4:5], s[4:5]
	s_cbranch_execz .LBB1_36
; %bb.40:                               ;   in Loop: Header=BB1_37 Depth=1
	ds_write_b32 v7, v8
	s_branch .LBB1_36
.LBB1_41:
	s_andn2_b64 vcc, exec, s[12:13]
	s_cbranch_vccnz .LBB1_56
; %bb.42:
	s_mov_b32 s16, 0
	v_lshl_add_u32 v6, v3, 2, 0
	s_branch .LBB1_44
.LBB1_43:                               ;   in Loop: Header=BB1_44 Depth=1
	s_add_i32 s16, s16, 1
	s_cmp_eq_u32 s16, s27
	s_cbranch_scc1 .LBB1_56
.LBB1_44:                               ; =>This Loop Header: Depth=1
                                        ;     Child Loop BB1_47 Depth 2
                                        ;       Child Loop BB1_50 Depth 3
                                        ;       Child Loop BB1_55 Depth 3
	s_and_b64 vcc, exec, s[2:3]
	s_cbranch_vccnz .LBB1_43
; %bb.45:                               ;   in Loop: Header=BB1_44 Depth=1
	s_lshl_b32 s17, 1, s16
	s_lshl_b32 s18, 2, s16
	;; [unrolled: 1-line block ×4, first 2 shown]
	s_cmp_lt_u32 s16, 4
	s_bfm_b32 s10, s16, 0
	s_cselect_b64 s[4:5], -1, 0
	s_cmp_gt_u32 s16, 3
	s_cselect_b64 s[8:9], -1, 0
	s_cmp_gt_u32 s10, 0x3fffffff
	s_cselect_b64 s[10:11], -1, 0
	v_add_u32_e32 v7, s19, v4
	v_lshl_add_u32 v8, 4, s16, v6
	s_bfm_b32 s21, s16, 2
	s_and_b32 s28, s17, 0x7ffffffe
	s_lshl_b32 s29, s18, 2
	s_mov_b32 s30, 0
	s_xor_b64 s[10:11], s[10:11], -1
	v_mov_b32_e32 v9, v4
	s_mov_b32 s31, 0
	s_branch .LBB1_47
.LBB1_46:                               ;   in Loop: Header=BB1_47 Depth=2
	s_or_b64 exec, exec, s[12:13]
	s_add_i32 s31, s31, s18
	s_add_i32 s30, s30, 1
	v_add_u32_e32 v9, s29, v9
	s_cmp_ge_u32 s31, s25
	v_add_u32_e32 v7, s29, v7
	s_cbranch_scc1 .LBB1_43
.LBB1_47:                               ;   Parent Loop BB1_44 Depth=1
                                        ; =>  This Loop Header: Depth=2
                                        ;       Child Loop BB1_50 Depth 3
                                        ;       Child Loop BB1_55 Depth 3
	s_and_b64 vcc, exec, s[8:9]
	s_mov_b64 s[14:15], s[4:5]
	s_cbranch_vccz .LBB1_53
; %bb.48:                               ;   in Loop: Header=BB1_47 Depth=2
	s_mul_i32 s12, s20, s30
	v_add_u32_e32 v10, s12, v8
	v_add_u32_e32 v11, s21, v10
	v_cmp_ge_u32_e32 vcc, v11, v10
	s_mov_b64 s[14:15], -1
	s_and_b64 s[34:35], vcc, s[10:11]
	s_and_saveexec_b64 s[12:13], s[34:35]
	s_cbranch_execz .LBB1_52
; %bb.49:                               ;   in Loop: Header=BB1_47 Depth=2
	v_mov_b32_e32 v10, v9
	s_mov_b32 s14, s28
.LBB1_50:                               ;   Parent Loop BB1_44 Depth=1
                                        ;     Parent Loop BB1_47 Depth=2
                                        ; =>    This Inner Loop Header: Depth=3
	v_add_u32_e32 v11, s19, v10
	ds_read2_b32 v[12:13], v10 offset1:1
	ds_read2_b32 v[14:15], v11 offset1:1
	s_add_i32 s14, s14, -2
	s_cmp_eq_u32 s14, 0
	s_waitcnt lgkmcnt(0)
	v_pk_add_f32 v[16:17], v[12:13], v[14:15]
	v_pk_add_f32 v[12:13], v[12:13], v[14:15] neg_lo:[0,1] neg_hi:[0,1]
	ds_write2_b32 v10, v16, v17 offset1:1
	ds_write2_b32 v11, v12, v13 offset1:1
	v_add_u32_e32 v10, 8, v10
	s_cbranch_scc0 .LBB1_50
; %bb.51:                               ;   in Loop: Header=BB1_47 Depth=2
	s_xor_b64 s[14:15], exec, -1
.LBB1_52:                               ;   in Loop: Header=BB1_47 Depth=2
	s_or_b64 exec, exec, s[12:13]
.LBB1_53:                               ;   in Loop: Header=BB1_47 Depth=2
	s_and_saveexec_b64 s[12:13], s[14:15]
	s_cbranch_execz .LBB1_46
; %bb.54:                               ;   in Loop: Header=BB1_47 Depth=2
	s_mov_b32 s14, 0
	s_mov_b32 s15, s17
.LBB1_55:                               ;   Parent Loop BB1_44 Depth=1
                                        ;     Parent Loop BB1_47 Depth=2
                                        ; =>    This Inner Loop Header: Depth=3
	v_add_u32_e32 v10, s14, v9
	v_add_u32_e32 v11, s14, v7
	ds_read_b32 v12, v10
	ds_read_b32 v13, v11
	s_add_i32 s15, s15, -1
	s_add_i32 s14, s14, 4
	s_cmp_eq_u32 s15, 0
	s_waitcnt lgkmcnt(0)
	v_add_f32_e32 v14, v12, v13
	v_sub_f32_e32 v12, v12, v13
	ds_write_b32 v10, v14
	ds_write_b32 v11, v12
	s_cbranch_scc0 .LBB1_55
	s_branch .LBB1_46
.LBB1_56:
	s_and_b64 vcc, exec, s[2:3]
	s_cbranch_vccnz .LBB1_65
; %bb.57:
	v_cvt_f32_u32_e32 v6, s25
	s_cmp_lt_u32 s25, 12
	s_cselect_b64 s[2:3], -1, 0
	s_mov_b32 s8, 0
	s_and_b64 vcc, exec, s[2:3]
	s_cbranch_vccnz .LBB1_62
; %bb.58:
	s_cmp_lt_i32 s22, 0
	s_cselect_b64 s[2:3], -1, 0
	s_abs_i32 s4, s22
	s_mul_i32 s9, s4, s26
	s_mul_hi_u32 s4, s4, s26
	s_cmp_lg_u32 s4, 0
	s_cselect_b64 s[4:5], -1, 0
	s_cmp_lg_u32 s9, 0
	s_cselect_b64 s[10:11], -1, 0
	s_and_b64 s[2:3], s[2:3], s[10:11]
	s_or_b64 s[4:5], s[2:3], s[4:5]
	s_mov_b64 s[2:3], -1
	s_andn2_b64 vcc, exec, s[4:5]
	s_mov_b32 s9, 1
	s_cbranch_vccz .LBB1_62
; %bb.59:
	s_and_b32 s8, s25, -2
	s_mov_b32 s10, s22
	s_mov_b32 s5, 0
	s_mov_b32 s11, s8
	s_mov_b32 s12, 0
.LBB1_60:                               ; =>This Inner Loop Header: Depth=1
	ds_read2_b32 v[8:9], v4 offset1:1
	s_mul_i32 s2, s9, s10
	s_mov_b32 s3, s5
	v_lshl_add_u64 v[12:13], s[2:3], 2, v[0:1]
	s_mul_i32 s4, s12, s22
	s_waitcnt lgkmcnt(0)
	v_div_scale_f32 v7, s[2:3], v6, v6, v9
	v_div_scale_f32 v15, s[2:3], v6, v6, v8
	v_rcp_f32_e32 v17, v7
	v_rcp_f32_e32 v18, v15
	v_div_scale_f32 v14, vcc, v9, v6, v9
	v_fma_f32 v19, -v7, v17, 1.0
	v_fma_f32 v20, -v15, v18, 1.0
	v_fmac_f32_e32 v17, v19, v17
	v_div_scale_f32 v16, s[2:3], v8, v6, v8
	v_fmac_f32_e32 v18, v20, v18
	v_mul_f32_e32 v19, v14, v17
	v_mul_f32_e32 v20, v16, v18
	v_fma_f32 v21, -v7, v19, v14
	v_fma_f32 v22, -v15, v20, v16
	v_fmac_f32_e32 v19, v21, v17
	v_fmac_f32_e32 v20, v22, v18
	v_fma_f32 v7, -v7, v19, v14
	v_fma_f32 v14, -v15, v20, v16
	v_div_fmas_f32 v7, v7, v17, v19
	s_mov_b64 vcc, s[2:3]
	s_add_i32 s12, s12, 2
	s_add_i32 s9, s9, 2
	s_add_i32 s11, s11, -2
	v_div_fixup_f32 v7, v7, v6, v9
	v_div_fmas_f32 v9, v14, v18, v20
	v_add_u32_e32 v4, 8, v4
	v_lshl_add_u64 v[10:11], s[4:5], 2, v[0:1]
	s_cmp_lg_u32 s11, 0
	v_div_fixup_f32 v8, v9, v6, v8
	global_store_dword v[10:11], v8, off
	global_store_dword v[12:13], v7, off
	s_cbranch_scc1 .LBB1_60
; %bb.61:
	s_cmp_lg_u32 s25, s8
	s_cselect_b64 s[2:3], -1, 0
.LBB1_62:
	s_and_b64 vcc, exec, s[2:3]
	s_cbranch_vccz .LBB1_65
; %bb.63:
	s_lshl_b32 s5, s8, 2
	s_mul_i32 s2, s8, s24
	s_add_i32 s5, s5, 0
	s_sub_i32 s4, s25, s8
	s_mul_i32 s2, s2, s23
	s_mov_b32 s3, 0
	v_lshl_add_u32 v3, v3, 2, s5
.LBB1_64:                               ; =>This Inner Loop Header: Depth=1
	ds_read_b32 v4, v3
	v_lshl_add_u64 v[8:9], s[2:3], 2, v[0:1]
	s_add_i32 s4, s4, -1
	s_add_i32 s2, s2, s22
	v_add_u32_e32 v3, 4, v3
	s_waitcnt lgkmcnt(0)
	v_div_scale_f32 v7, s[8:9], v6, v6, v4
	v_rcp_f32_e32 v10, v7
	v_div_scale_f32 v11, vcc, v4, v6, v4
	s_cmp_eq_u32 s4, 0
	v_fma_f32 v12, -v7, v10, 1.0
	v_fmac_f32_e32 v10, v12, v10
	v_mul_f32_e32 v12, v11, v10
	v_fma_f32 v13, -v7, v12, v11
	v_fmac_f32_e32 v12, v13, v10
	v_fma_f32 v7, -v7, v12, v11
	v_div_fmas_f32 v7, v7, v10, v12
	v_div_fixup_f32 v4, v7, v6, v4
	global_store_dword v[8:9], v4, off
	s_cbranch_scc0 .LBB1_64
.LBB1_65:
	v_mbcnt_lo_u32_b32 v0, -1, 0
	v_mbcnt_hi_u32_b32 v6, -1, v0
	v_and_b32_e32 v7, 63, v6
	v_cmp_gt_u32_e32 vcc, 48, v7
	s_waitcnt lgkmcnt(0)
	s_barrier
	v_cndmask_b32_e64 v0, 0, 16, vcc
	v_add_lshl_u32 v0, v0, v6, 2
	ds_bpermute_b32 v3, v0, v5
	v_cmp_gt_u32_e32 vcc, 56, v7
	s_waitcnt lgkmcnt(0)
	v_add_u32_e32 v4, v3, v5
	v_cndmask_b32_e64 v1, 0, 8, vcc
	v_add_lshl_u32 v1, v1, v6, 2
	ds_bpermute_b32 v5, v1, v4
	v_cmp_gt_u32_e32 vcc, 60, v7
	s_waitcnt lgkmcnt(0)
	v_add_u32_e32 v5, v5, v4
	;; [unrolled: 6-line block ×3, first 2 shown]
	v_cndmask_b32_e64 v4, 0, 2, vcc
	v_add_lshl_u32 v4, v4, v6, 2
	ds_bpermute_b32 v8, v4, v5
	v_cmp_ne_u32_e32 vcc, 63, v7
	s_nop 1
	v_addc_co_u32_e32 v7, vcc, 0, v6, vcc
	s_waitcnt lgkmcnt(0)
	v_add_u32_e32 v6, v8, v5
	v_lshlrev_b32_e32 v5, 2, v7
	ds_bpermute_b32 v8, v5, v6
	v_and_b32_e32 v7, 31, v2
	v_cmp_eq_u32_e32 vcc, 0, v7
	s_and_saveexec_b64 s[2:3], vcc
	s_cbranch_execz .LBB1_67
; %bb.66:
	s_waitcnt lgkmcnt(0)
	v_add_u32_e32 v6, v8, v6
	v_lshrrev_b32_e32 v8, 3, v2
	v_add_u32_e32 v8, 0, v8
	ds_write_b32 v8, v6
.LBB1_67:
	s_or_b64 exec, exec, s[2:3]
	s_ashr_i32 s2, s22, 31
	s_lshr_b32 s2, s2, 27
	s_add_i32 s2, s22, s2
	s_ashr_i32 s2, s2, 5
	v_cmp_gt_i32_e32 vcc, s2, v2
	v_mov_b32_e32 v6, 0
	s_waitcnt lgkmcnt(0)
	s_barrier
	s_and_saveexec_b64 s[2:3], vcc
	s_cbranch_execnz .LBB1_72
; %bb.68:
	s_or_b64 exec, exec, s[2:3]
	v_cmp_gt_u32_e32 vcc, 32, v2
	s_and_saveexec_b64 s[2:3], vcc
	s_cbranch_execnz .LBB1_73
.LBB1_69:
	s_or_b64 exec, exec, s[2:3]
	v_cmp_eq_u32_e32 vcc, 0, v2
	s_and_saveexec_b64 s[2:3], vcc
	s_cbranch_execz .LBB1_71
.LBB1_70:
	s_waitcnt lgkmcnt(0)
	v_cvt_f32_u32_e32 v0, v6
	s_load_dwordx2 s[0:1], s[0:1], 0x10
	v_cvt_u32_f32_e32 v0, v0
	s_waitcnt lgkmcnt(0)
	s_add_u32 s0, s0, s6
	s_addc_u32 s1, s1, s7
	v_max_u32_e32 v0, 1, v0
	v_cvt_f32_u32_e32 v0, v0
	v_div_scale_f32 v1, s[2:3], v0, v0, 1.0
	v_rcp_f32_e32 v2, v1
	v_div_scale_f32 v3, vcc, 1.0, v0, 1.0
	v_fma_f32 v4, -v1, v2, 1.0
	v_fmac_f32_e32 v2, v4, v2
	v_mul_f32_e32 v4, v3, v2
	v_fma_f32 v5, -v1, v4, v3
	v_fmac_f32_e32 v4, v5, v2
	v_fma_f32 v1, -v1, v4, v3
	v_div_fmas_f32 v1, v1, v2, v4
	v_div_fixup_f32 v0, v1, v0, 1.0
	v_mov_b32_e32 v1, 0
	global_store_dword v1, v0, s[0:1]
.LBB1_71:
	s_endpgm
.LBB1_72:
	v_lshl_add_u32 v6, v7, 2, 0
	ds_read_b32 v6, v6
	s_or_b64 exec, exec, s[2:3]
	v_cmp_gt_u32_e32 vcc, 32, v2
	s_and_saveexec_b64 s[2:3], vcc
	s_cbranch_execz .LBB1_69
.LBB1_73:
	s_waitcnt lgkmcnt(0)
	ds_bpermute_b32 v0, v0, v6
	s_waitcnt lgkmcnt(0)
	v_add_u32_e32 v0, v0, v6
	ds_bpermute_b32 v1, v1, v0
	s_waitcnt lgkmcnt(0)
	v_add_u32_e32 v0, v1, v0
	ds_bpermute_b32 v1, v3, v0
	s_waitcnt lgkmcnt(0)
	v_add_u32_e32 v0, v1, v0
	ds_bpermute_b32 v1, v4, v0
	s_waitcnt lgkmcnt(0)
	v_add_u32_e32 v0, v1, v0
	ds_bpermute_b32 v1, v5, v0
	s_waitcnt lgkmcnt(0)
	v_add_u32_e32 v6, v1, v0
	s_or_b64 exec, exec, s[2:3]
	v_cmp_eq_u32_e32 vcc, 0, v2
	s_and_saveexec_b64 s[2:3], vcc
	s_cbranch_execnz .LBB1_70
	s_branch .LBB1_71
	.section	.rodata,"a",@progbits
	.p2align	6, 0x0
	.amdhsa_kernel _Z19hard_treshold_block15HIP_vector_typeIjLj2EEPfS1_PKjS0_6Paramsj
		.amdhsa_group_segment_fixed_size 0
		.amdhsa_private_segment_fixed_size 0
		.amdhsa_kernarg_size 328
		.amdhsa_user_sgpr_count 2
		.amdhsa_user_sgpr_dispatch_ptr 0
		.amdhsa_user_sgpr_queue_ptr 0
		.amdhsa_user_sgpr_kernarg_segment_ptr 1
		.amdhsa_user_sgpr_dispatch_id 0
		.amdhsa_user_sgpr_kernarg_preload_length 0
		.amdhsa_user_sgpr_kernarg_preload_offset 0
		.amdhsa_user_sgpr_private_segment_size 0
		.amdhsa_uses_dynamic_stack 0
		.amdhsa_enable_private_segment 0
		.amdhsa_system_sgpr_workgroup_id_x 1
		.amdhsa_system_sgpr_workgroup_id_y 1
		.amdhsa_system_sgpr_workgroup_id_z 0
		.amdhsa_system_sgpr_workgroup_info 0
		.amdhsa_system_vgpr_workitem_id 1
		.amdhsa_next_free_vgpr 23
		.amdhsa_next_free_sgpr 40
		.amdhsa_accum_offset 24
		.amdhsa_reserve_vcc 1
		.amdhsa_float_round_mode_32 0
		.amdhsa_float_round_mode_16_64 0
		.amdhsa_float_denorm_mode_32 3
		.amdhsa_float_denorm_mode_16_64 3
		.amdhsa_dx10_clamp 1
		.amdhsa_ieee_mode 1
		.amdhsa_fp16_overflow 0
		.amdhsa_tg_split 0
		.amdhsa_exception_fp_ieee_invalid_op 0
		.amdhsa_exception_fp_denorm_src 0
		.amdhsa_exception_fp_ieee_div_zero 0
		.amdhsa_exception_fp_ieee_overflow 0
		.amdhsa_exception_fp_ieee_underflow 0
		.amdhsa_exception_fp_ieee_inexact 0
		.amdhsa_exception_int_div_zero 0
	.end_amdhsa_kernel
	.text
.Lfunc_end1:
	.size	_Z19hard_treshold_block15HIP_vector_typeIjLj2EEPfS1_PKjS0_6Paramsj, .Lfunc_end1-_Z19hard_treshold_block15HIP_vector_typeIjLj2EEPfS1_PKjS0_6Paramsj
                                        ; -- End function
	.set _Z19hard_treshold_block15HIP_vector_typeIjLj2EEPfS1_PKjS0_6Paramsj.num_vgpr, 23
	.set _Z19hard_treshold_block15HIP_vector_typeIjLj2EEPfS1_PKjS0_6Paramsj.num_agpr, 0
	.set _Z19hard_treshold_block15HIP_vector_typeIjLj2EEPfS1_PKjS0_6Paramsj.numbered_sgpr, 40
	.set _Z19hard_treshold_block15HIP_vector_typeIjLj2EEPfS1_PKjS0_6Paramsj.num_named_barrier, 0
	.set _Z19hard_treshold_block15HIP_vector_typeIjLj2EEPfS1_PKjS0_6Paramsj.private_seg_size, 0
	.set _Z19hard_treshold_block15HIP_vector_typeIjLj2EEPfS1_PKjS0_6Paramsj.uses_vcc, 1
	.set _Z19hard_treshold_block15HIP_vector_typeIjLj2EEPfS1_PKjS0_6Paramsj.uses_flat_scratch, 0
	.set _Z19hard_treshold_block15HIP_vector_typeIjLj2EEPfS1_PKjS0_6Paramsj.has_dyn_sized_stack, 0
	.set _Z19hard_treshold_block15HIP_vector_typeIjLj2EEPfS1_PKjS0_6Paramsj.has_recursion, 0
	.set _Z19hard_treshold_block15HIP_vector_typeIjLj2EEPfS1_PKjS0_6Paramsj.has_indirect_call, 0
	.section	.AMDGPU.csdata,"",@progbits
; Kernel info:
; codeLenInByte = 2944
; TotalNumSgprs: 46
; NumVgprs: 23
; NumAgprs: 0
; TotalNumVgprs: 23
; ScratchSize: 0
; MemoryBound: 0
; FloatMode: 240
; IeeeMode: 1
; LDSByteSize: 0 bytes/workgroup (compile time only)
; SGPRBlocks: 5
; VGPRBlocks: 2
; NumSGPRsForWavesPerEU: 46
; NumVGPRsForWavesPerEU: 23
; AccumOffset: 24
; Occupancy: 8
; WaveLimiterHint : 0
; COMPUTE_PGM_RSRC2:SCRATCH_EN: 0
; COMPUTE_PGM_RSRC2:USER_SGPR: 2
; COMPUTE_PGM_RSRC2:TRAP_HANDLER: 0
; COMPUTE_PGM_RSRC2:TGID_X_EN: 1
; COMPUTE_PGM_RSRC2:TGID_Y_EN: 1
; COMPUTE_PGM_RSRC2:TGID_Z_EN: 0
; COMPUTE_PGM_RSRC2:TIDIG_COMP_CNT: 1
; COMPUTE_PGM_RSRC3_GFX90A:ACCUM_OFFSET: 5
; COMPUTE_PGM_RSRC3_GFX90A:TG_SPLIT: 0
	.text
	.protected	_Z15aggregate_block15HIP_vector_typeIjLj2EEPKfS2_PKtS2_PfS5_PKjS0_S0_6Params ; -- Begin function _Z15aggregate_block15HIP_vector_typeIjLj2EEPKfS2_PKtS2_PfS5_PKjS0_S0_6Params
	.globl	_Z15aggregate_block15HIP_vector_typeIjLj2EEPKfS2_PKtS2_PfS5_PKjS0_S0_6Params
	.p2align	8
	.type	_Z15aggregate_block15HIP_vector_typeIjLj2EEPKfS2_PKtS2_PfS5_PKjS0_S0_6Params,@function
_Z15aggregate_block15HIP_vector_typeIjLj2EEPKfS2_PKtS2_PfS5_PKjS0_S0_6Params: ; @_Z15aggregate_block15HIP_vector_typeIjLj2EEPKfS2_PKtS2_PfS5_PKjS0_S0_6Params
; %bb.0:
	s_load_dword s8, s[0:1], 0x64
	s_load_dwordx2 s[4:5], s[0:1], 0x0
	s_load_dwordx2 s[6:7], s[0:1], 0x48
	s_waitcnt lgkmcnt(0)
	s_mul_i32 s9, s8, s2
	s_add_i32 s9, s9, s4
	s_mul_i32 s4, s8, s3
	s_add_i32 s4, s4, s5
	s_add_i32 s5, s7, -1
	s_add_i32 s10, s5, s8
	s_cmp_lt_u32 s4, s10
	s_cselect_b32 s5, s5, s4
	s_cmp_lt_u32 s4, s7
	s_cselect_b32 s16, s4, s5
	s_add_i32 s4, s6, -1
	s_add_i32 s5, s4, s8
	s_cmp_lt_u32 s9, s5
	s_cselect_b32 s4, s4, s9
	s_cmp_lt_u32 s9, s6
	s_cselect_b32 s17, s9, s4
	s_cmp_ge_u32 s17, s6
	s_cselect_b64 s[4:5], -1, 0
	s_cmp_ge_u32 s16, s7
	s_cselect_b64 s[6:7], -1, 0
	s_or_b64 s[4:5], s[4:5], s[6:7]
	s_and_b64 vcc, exec, s[4:5]
	s_cbranch_vccnz .LBB2_5
; %bb.1:
	s_load_dword s6, s[0:1], 0x70
	s_load_dwordx2 s[4:5], s[0:1], 0x38
	s_mov_b32 s9, 0
	s_waitcnt lgkmcnt(0)
	s_mul_i32 s3, s6, s3
	s_add_i32 s8, s3, s2
	s_lshl_b64 s[12:13], s[8:9], 2
	s_add_u32 s2, s4, s12
	s_addc_u32 s3, s5, s13
	s_load_dword s14, s[2:3], 0x0
	s_waitcnt lgkmcnt(0)
	s_cmp_eq_u32 s14, -1
	s_cbranch_scc1 .LBB2_5
; %bb.2:
	s_load_dwordx2 s[10:11], s[0:1], 0x54
	s_load_dwordx4 s[20:23], s[0:1], 0x8
	s_load_dwordx4 s[4:7], s[0:1], 0x20
	s_mov_b32 s3, s9
	v_and_b32_e32 v4, 0x3ff, v0
	s_waitcnt lgkmcnt(0)
	s_mul_i32 s9, s10, s10
	s_add_i32 s2, s11, 1
	v_bfe_u32 v7, v0, 10, 10
	s_mul_i32 s2, s9, s2
	v_mad_u64_u32 v[0:1], s[18:19], s10, v7, v[4:5]
	s_mul_i32 s2, s2, s8
	v_mov_b32_e32 v1, 0
	s_lshl_b64 s[2:3], s[2:3], 2
	v_lshlrev_b64 v[8:9], 2, v[0:1]
	s_add_u32 s2, s20, s2
	v_lshl_add_u64 v[2:3], s[4:5], 0, v[8:9]
	s_addc_u32 s3, s21, s3
	global_load_dword v3, v[2:3], off
	v_lshl_add_u64 v[8:9], s[2:3], 0, v[8:9]
	global_load_dword v0, v[8:9], off
	s_load_dwordx2 s[4:5], s[0:1], 0x30
	s_load_dword s15, s[0:1], 0x40
	s_add_u32 s12, s22, s12
	s_addc_u32 s13, s23, s13
	s_load_dword s12, s[12:13], 0x0
	v_add_u32_e32 v5, s16, v7
	v_add_u32_e32 v2, s17, v4
	s_cmp_eq_u32 s14, 0
	s_waitcnt vmcnt(1) lgkmcnt(0)
	v_mad_u64_u32 v[8:9], s[16:17], v5, s15, v[2:3]
	v_ashrrev_i32_e32 v9, 31, v8
	v_lshlrev_b64 v[8:9], 2, v[8:9]
	s_waitcnt vmcnt(0)
	v_mul_f32_e32 v0, v3, v0
	v_lshl_add_u64 v[10:11], s[6:7], 0, v[8:9]
	v_mul_f32_e32 v0, s12, v0
	v_mul_f32_e32 v6, s12, v3
	global_atomic_add_f32 v[10:11], v0, off
	v_lshl_add_u64 v[8:9], s[4:5], 0, v[8:9]
	global_atomic_add_f32 v[8:9], v6, off
	s_cbranch_scc1 .LBB2_5
; %bb.3:
	s_load_dwordx2 s[0:1], s[0:1], 0x18
	s_mul_i32 s16, s8, s11
	s_mov_b32 s17, 0
	v_add_u32_e32 v0, s10, v7
	s_lshl_b64 s[16:17], s[16:17], 1
	s_waitcnt lgkmcnt(0)
	s_add_u32 s0, s0, s16
	v_mad_u64_u32 v[8:9], s[10:11], s10, v0, v[4:5]
	s_addc_u32 s1, s1, s17
	v_mov_b32_e32 v0, v8
.LBB2_4:                                ; =>This Inner Loop Header: Depth=1
	global_load_ushort v4, v1, s[0:1]
	v_lshl_add_u64 v[8:9], v[0:1], 2, s[2:3]
	global_load_dword v7, v[8:9], off
	s_add_i32 s14, s14, -1
	s_add_u32 s0, s0, 2
	s_addc_u32 s1, s1, 0
	s_cmp_lg_u32 s14, 0
	v_add_u32_e32 v0, s9, v0
	s_waitcnt vmcnt(1)
	v_bfe_i32 v8, v4, 0, 8
	v_add_u32_sdwa v4, v5, sext(v4) dst_sel:DWORD dst_unused:UNUSED_PAD src0_sel:DWORD src1_sel:BYTE_1
	v_mul_lo_u32 v4, v4, s15
	v_add3_u32 v8, v2, v8, v4
	v_ashrrev_i32_e32 v9, 31, v8
	s_waitcnt vmcnt(0)
	v_mul_f32_e32 v7, v3, v7
	v_lshlrev_b64 v[8:9], 2, v[8:9]
	v_mul_f32_e32 v4, s12, v7
	v_lshl_add_u64 v[10:11], s[6:7], 0, v[8:9]
	v_lshl_add_u64 v[8:9], s[4:5], 0, v[8:9]
	global_atomic_add_f32 v[10:11], v4, off
	global_atomic_add_f32 v[8:9], v6, off
	s_cbranch_scc1 .LBB2_4
.LBB2_5:
	s_endpgm
	.section	.rodata,"a",@progbits
	.p2align	6, 0x0
	.amdhsa_kernel _Z15aggregate_block15HIP_vector_typeIjLj2EEPKfS2_PKtS2_PfS5_PKjS0_S0_6Params
		.amdhsa_group_segment_fixed_size 0
		.amdhsa_private_segment_fixed_size 0
		.amdhsa_kernarg_size 368
		.amdhsa_user_sgpr_count 2
		.amdhsa_user_sgpr_dispatch_ptr 0
		.amdhsa_user_sgpr_queue_ptr 0
		.amdhsa_user_sgpr_kernarg_segment_ptr 1
		.amdhsa_user_sgpr_dispatch_id 0
		.amdhsa_user_sgpr_kernarg_preload_length 0
		.amdhsa_user_sgpr_kernarg_preload_offset 0
		.amdhsa_user_sgpr_private_segment_size 0
		.amdhsa_uses_dynamic_stack 0
		.amdhsa_enable_private_segment 0
		.amdhsa_system_sgpr_workgroup_id_x 1
		.amdhsa_system_sgpr_workgroup_id_y 1
		.amdhsa_system_sgpr_workgroup_id_z 0
		.amdhsa_system_sgpr_workgroup_info 0
		.amdhsa_system_vgpr_workitem_id 1
		.amdhsa_next_free_vgpr 12
		.amdhsa_next_free_sgpr 24
		.amdhsa_accum_offset 12
		.amdhsa_reserve_vcc 1
		.amdhsa_float_round_mode_32 0
		.amdhsa_float_round_mode_16_64 0
		.amdhsa_float_denorm_mode_32 3
		.amdhsa_float_denorm_mode_16_64 3
		.amdhsa_dx10_clamp 1
		.amdhsa_ieee_mode 1
		.amdhsa_fp16_overflow 0
		.amdhsa_tg_split 0
		.amdhsa_exception_fp_ieee_invalid_op 0
		.amdhsa_exception_fp_denorm_src 0
		.amdhsa_exception_fp_ieee_div_zero 0
		.amdhsa_exception_fp_ieee_overflow 0
		.amdhsa_exception_fp_ieee_underflow 0
		.amdhsa_exception_fp_ieee_inexact 0
		.amdhsa_exception_int_div_zero 0
	.end_amdhsa_kernel
	.text
.Lfunc_end2:
	.size	_Z15aggregate_block15HIP_vector_typeIjLj2EEPKfS2_PKtS2_PfS5_PKjS0_S0_6Params, .Lfunc_end2-_Z15aggregate_block15HIP_vector_typeIjLj2EEPKfS2_PKtS2_PfS5_PKjS0_S0_6Params
                                        ; -- End function
	.set _Z15aggregate_block15HIP_vector_typeIjLj2EEPKfS2_PKtS2_PfS5_PKjS0_S0_6Params.num_vgpr, 12
	.set _Z15aggregate_block15HIP_vector_typeIjLj2EEPKfS2_PKtS2_PfS5_PKjS0_S0_6Params.num_agpr, 0
	.set _Z15aggregate_block15HIP_vector_typeIjLj2EEPKfS2_PKtS2_PfS5_PKjS0_S0_6Params.numbered_sgpr, 24
	.set _Z15aggregate_block15HIP_vector_typeIjLj2EEPKfS2_PKtS2_PfS5_PKjS0_S0_6Params.num_named_barrier, 0
	.set _Z15aggregate_block15HIP_vector_typeIjLj2EEPKfS2_PKtS2_PfS5_PKjS0_S0_6Params.private_seg_size, 0
	.set _Z15aggregate_block15HIP_vector_typeIjLj2EEPKfS2_PKtS2_PfS5_PKjS0_S0_6Params.uses_vcc, 1
	.set _Z15aggregate_block15HIP_vector_typeIjLj2EEPKfS2_PKtS2_PfS5_PKjS0_S0_6Params.uses_flat_scratch, 0
	.set _Z15aggregate_block15HIP_vector_typeIjLj2EEPKfS2_PKtS2_PfS5_PKjS0_S0_6Params.has_dyn_sized_stack, 0
	.set _Z15aggregate_block15HIP_vector_typeIjLj2EEPKfS2_PKtS2_PfS5_PKjS0_S0_6Params.has_recursion, 0
	.set _Z15aggregate_block15HIP_vector_typeIjLj2EEPKfS2_PKtS2_PfS5_PKjS0_S0_6Params.has_indirect_call, 0
	.section	.AMDGPU.csdata,"",@progbits
; Kernel info:
; codeLenInByte = 624
; TotalNumSgprs: 30
; NumVgprs: 12
; NumAgprs: 0
; TotalNumVgprs: 12
; ScratchSize: 0
; MemoryBound: 0
; FloatMode: 240
; IeeeMode: 1
; LDSByteSize: 0 bytes/workgroup (compile time only)
; SGPRBlocks: 3
; VGPRBlocks: 1
; NumSGPRsForWavesPerEU: 30
; NumVGPRsForWavesPerEU: 12
; AccumOffset: 12
; Occupancy: 8
; WaveLimiterHint : 1
; COMPUTE_PGM_RSRC2:SCRATCH_EN: 0
; COMPUTE_PGM_RSRC2:USER_SGPR: 2
; COMPUTE_PGM_RSRC2:TRAP_HANDLER: 0
; COMPUTE_PGM_RSRC2:TGID_X_EN: 1
; COMPUTE_PGM_RSRC2:TGID_Y_EN: 1
; COMPUTE_PGM_RSRC2:TGID_Z_EN: 0
; COMPUTE_PGM_RSRC2:TIDIG_COMP_CNT: 1
; COMPUTE_PGM_RSRC3_GFX90A:ACCUM_OFFSET: 2
; COMPUTE_PGM_RSRC3_GFX90A:TG_SPLIT: 0
	.text
	.protected	_Z15aggregate_finalPKfS0_15HIP_vector_typeIjLj2EEPh ; -- Begin function _Z15aggregate_finalPKfS0_15HIP_vector_typeIjLj2EEPh
	.globl	_Z15aggregate_finalPKfS0_15HIP_vector_typeIjLj2EEPh
	.p2align	8
	.type	_Z15aggregate_finalPKfS0_15HIP_vector_typeIjLj2EEPh,@function
_Z15aggregate_finalPKfS0_15HIP_vector_typeIjLj2EEPh: ; @_Z15aggregate_finalPKfS0_15HIP_vector_typeIjLj2EEPh
; %bb.0:
	s_load_dword s6, s[0:1], 0x2c
	s_load_dwordx2 s[4:5], s[0:1], 0x10
	v_and_b32_e32 v1, 0x3ff, v0
	v_bfe_u32 v0, v0, 10, 10
	s_waitcnt lgkmcnt(0)
	s_lshr_b32 s7, s6, 16
	s_and_b32 s6, s6, 0xffff
	s_mul_i32 s2, s2, s6
	s_mul_i32 s3, s3, s7
	v_add_u32_e32 v2, s2, v1
	v_add_u32_e32 v0, s3, v0
	v_cmp_gt_u32_e32 vcc, s4, v2
	v_cmp_gt_u32_e64 s[2:3], s5, v0
	s_and_b64 s[2:3], vcc, s[2:3]
	s_and_saveexec_b64 s[6:7], s[2:3]
	s_cbranch_execz .LBB3_2
; %bb.1:
	s_load_dwordx4 s[8:11], s[0:1], 0x0
	s_load_dwordx2 s[2:3], s[0:1], 0x18
	v_mad_u64_u32 v[0:1], s[0:1], v0, s4, v[2:3]
	v_mov_b32_e32 v1, 0
	v_lshlrev_b64 v[2:3], 2, v[0:1]
	s_waitcnt lgkmcnt(0)
	v_lshl_add_u64 v[4:5], s[8:9], 0, v[2:3]
	v_lshl_add_u64 v[2:3], s[10:11], 0, v[2:3]
	global_load_dword v1, v[4:5], off
	s_mov_b32 s4, 0x2f800000
	global_load_dword v2, v[2:3], off
	s_waitcnt vmcnt(0)
	v_div_scale_f32 v3, s[0:1], v2, v2, v1
	v_rcp_f32_e32 v4, v3
	v_div_scale_f32 v5, vcc, v1, v2, v1
	s_mov_b32 s0, 0xcf800000
	v_fma_f32 v6, -v3, v4, 1.0
	v_fmac_f32_e32 v4, v6, v4
	v_mul_f32_e32 v6, v5, v4
	v_fma_f32 v7, -v3, v6, v5
	v_fmac_f32_e32 v6, v7, v4
	v_fma_f32 v3, -v3, v6, v5
	v_div_fmas_f32 v3, v3, v4, v6
	v_div_fixup_f32 v1, v3, v2, v1
	v_rndne_f32_e32 v1, v1
	v_mul_f32_e64 v2, |v1|, s4
	v_floor_f32_e32 v2, v2
	v_fma_f32 v2, v2, s0, |v1|
	v_cvt_u32_f32_e32 v2, v2
	v_ashrrev_i32_e32 v1, 31, v1
	v_xor_b32_e32 v2, v2, v1
	v_sub_u32_e32 v1, v2, v1
	v_mov_b32_e32 v2, 0xff
	v_med3_i32 v1, v1, 0, v2
	global_store_byte v0, v1, s[2:3]
.LBB3_2:
	s_endpgm
	.section	.rodata,"a",@progbits
	.p2align	6, 0x0
	.amdhsa_kernel _Z15aggregate_finalPKfS0_15HIP_vector_typeIjLj2EEPh
		.amdhsa_group_segment_fixed_size 0
		.amdhsa_private_segment_fixed_size 0
		.amdhsa_kernarg_size 288
		.amdhsa_user_sgpr_count 2
		.amdhsa_user_sgpr_dispatch_ptr 0
		.amdhsa_user_sgpr_queue_ptr 0
		.amdhsa_user_sgpr_kernarg_segment_ptr 1
		.amdhsa_user_sgpr_dispatch_id 0
		.amdhsa_user_sgpr_kernarg_preload_length 0
		.amdhsa_user_sgpr_kernarg_preload_offset 0
		.amdhsa_user_sgpr_private_segment_size 0
		.amdhsa_uses_dynamic_stack 0
		.amdhsa_enable_private_segment 0
		.amdhsa_system_sgpr_workgroup_id_x 1
		.amdhsa_system_sgpr_workgroup_id_y 1
		.amdhsa_system_sgpr_workgroup_id_z 0
		.amdhsa_system_sgpr_workgroup_info 0
		.amdhsa_system_vgpr_workitem_id 1
		.amdhsa_next_free_vgpr 8
		.amdhsa_next_free_sgpr 12
		.amdhsa_accum_offset 8
		.amdhsa_reserve_vcc 1
		.amdhsa_float_round_mode_32 0
		.amdhsa_float_round_mode_16_64 0
		.amdhsa_float_denorm_mode_32 3
		.amdhsa_float_denorm_mode_16_64 3
		.amdhsa_dx10_clamp 1
		.amdhsa_ieee_mode 1
		.amdhsa_fp16_overflow 0
		.amdhsa_tg_split 0
		.amdhsa_exception_fp_ieee_invalid_op 0
		.amdhsa_exception_fp_denorm_src 0
		.amdhsa_exception_fp_ieee_div_zero 0
		.amdhsa_exception_fp_ieee_overflow 0
		.amdhsa_exception_fp_ieee_underflow 0
		.amdhsa_exception_fp_ieee_inexact 0
		.amdhsa_exception_int_div_zero 0
	.end_amdhsa_kernel
	.text
.Lfunc_end3:
	.size	_Z15aggregate_finalPKfS0_15HIP_vector_typeIjLj2EEPh, .Lfunc_end3-_Z15aggregate_finalPKfS0_15HIP_vector_typeIjLj2EEPh
                                        ; -- End function
	.set _Z15aggregate_finalPKfS0_15HIP_vector_typeIjLj2EEPh.num_vgpr, 8
	.set _Z15aggregate_finalPKfS0_15HIP_vector_typeIjLj2EEPh.num_agpr, 0
	.set _Z15aggregate_finalPKfS0_15HIP_vector_typeIjLj2EEPh.numbered_sgpr, 12
	.set _Z15aggregate_finalPKfS0_15HIP_vector_typeIjLj2EEPh.num_named_barrier, 0
	.set _Z15aggregate_finalPKfS0_15HIP_vector_typeIjLj2EEPh.private_seg_size, 0
	.set _Z15aggregate_finalPKfS0_15HIP_vector_typeIjLj2EEPh.uses_vcc, 1
	.set _Z15aggregate_finalPKfS0_15HIP_vector_typeIjLj2EEPh.uses_flat_scratch, 0
	.set _Z15aggregate_finalPKfS0_15HIP_vector_typeIjLj2EEPh.has_dyn_sized_stack, 0
	.set _Z15aggregate_finalPKfS0_15HIP_vector_typeIjLj2EEPh.has_recursion, 0
	.set _Z15aggregate_finalPKfS0_15HIP_vector_typeIjLj2EEPh.has_indirect_call, 0
	.section	.AMDGPU.csdata,"",@progbits
; Kernel info:
; codeLenInByte = 320
; TotalNumSgprs: 18
; NumVgprs: 8
; NumAgprs: 0
; TotalNumVgprs: 8
; ScratchSize: 0
; MemoryBound: 0
; FloatMode: 240
; IeeeMode: 1
; LDSByteSize: 0 bytes/workgroup (compile time only)
; SGPRBlocks: 2
; VGPRBlocks: 0
; NumSGPRsForWavesPerEU: 18
; NumVGPRsForWavesPerEU: 8
; AccumOffset: 8
; Occupancy: 8
; WaveLimiterHint : 0
; COMPUTE_PGM_RSRC2:SCRATCH_EN: 0
; COMPUTE_PGM_RSRC2:USER_SGPR: 2
; COMPUTE_PGM_RSRC2:TRAP_HANDLER: 0
; COMPUTE_PGM_RSRC2:TGID_X_EN: 1
; COMPUTE_PGM_RSRC2:TGID_Y_EN: 1
; COMPUTE_PGM_RSRC2:TGID_Z_EN: 0
; COMPUTE_PGM_RSRC2:TIDIG_COMP_CNT: 1
; COMPUTE_PGM_RSRC3_GFX90A:ACCUM_OFFSET: 1
; COMPUTE_PGM_RSRC3_GFX90A:TG_SPLIT: 0
	.text
	.p2alignl 6, 3212836864
	.fill 256, 4, 3212836864
	.section	.AMDGPU.gpr_maximums,"",@progbits
	.set amdgpu.max_num_vgpr, 0
	.set amdgpu.max_num_agpr, 0
	.set amdgpu.max_num_sgpr, 0
	.text
	.type	__hip_cuid_f61ff0620f32926b,@object ; @__hip_cuid_f61ff0620f32926b
	.section	.bss,"aw",@nobits
	.globl	__hip_cuid_f61ff0620f32926b
__hip_cuid_f61ff0620f32926b:
	.byte	0                               ; 0x0
	.size	__hip_cuid_f61ff0620f32926b, 1

	.ident	"AMD clang version 22.0.0git (https://github.com/RadeonOpenCompute/llvm-project roc-7.2.4 26084 f58b06dce1f9c15707c5f808fd002e18c2accf7e)"
	.section	".note.GNU-stack","",@progbits
	.addrsig
	.addrsig_sym __hip_cuid_f61ff0620f32926b
	.amdgpu_metadata
---
amdhsa.kernels:
  - .agpr_count:     0
    .args:
      - .offset:         0
        .size:           8
        .value_kind:     by_value
      - .actual_access:  read_only
        .address_space:  global
        .offset:         8
        .size:           8
        .value_kind:     global_buffer
      - .actual_access:  read_only
        .address_space:  global
        .offset:         16
        .size:           8
        .value_kind:     global_buffer
      - .actual_access:  read_only
        .address_space:  global
        .offset:         24
        .size:           8
        .value_kind:     global_buffer
      - .actual_access:  write_only
        .address_space:  global
        .offset:         32
        .size:           8
        .value_kind:     global_buffer
      - .offset:         40
        .size:           8
        .value_kind:     by_value
      - .offset:         48
        .size:           8
        .value_kind:     by_value
      - .offset:         56
        .size:           28
        .value_kind:     by_value
      - .offset:         88
        .size:           4
        .value_kind:     hidden_block_count_x
      - .offset:         92
        .size:           4
        .value_kind:     hidden_block_count_y
      - .offset:         96
        .size:           4
        .value_kind:     hidden_block_count_z
      - .offset:         100
        .size:           2
        .value_kind:     hidden_group_size_x
      - .offset:         102
        .size:           2
        .value_kind:     hidden_group_size_y
      - .offset:         104
        .size:           2
        .value_kind:     hidden_group_size_z
      - .offset:         106
        .size:           2
        .value_kind:     hidden_remainder_x
      - .offset:         108
        .size:           2
        .value_kind:     hidden_remainder_y
      - .offset:         110
        .size:           2
        .value_kind:     hidden_remainder_z
      - .offset:         128
        .size:           8
        .value_kind:     hidden_global_offset_x
      - .offset:         136
        .size:           8
        .value_kind:     hidden_global_offset_y
      - .offset:         144
        .size:           8
        .value_kind:     hidden_global_offset_z
      - .offset:         152
        .size:           2
        .value_kind:     hidden_grid_dims
    .group_segment_fixed_size: 0
    .kernarg_segment_align: 8
    .kernarg_segment_size: 344
    .language:       OpenCL C
    .language_version:
      - 2
      - 0
    .max_flat_workgroup_size: 1024
    .name:           _Z9get_block15HIP_vector_typeIjLj2EEPKhPKtPKjPfS0_S0_6Params
    .private_segment_fixed_size: 0
    .sgpr_count:     30
    .sgpr_spill_count: 0
    .symbol:         _Z9get_block15HIP_vector_typeIjLj2EEPKhPKtPKjPfS0_S0_6Params.kd
    .uniform_work_group_size: 1
    .uses_dynamic_stack: false
    .vgpr_count:     16
    .vgpr_spill_count: 0
    .wavefront_size: 64
  - .agpr_count:     0
    .args:
      - .offset:         0
        .size:           8
        .value_kind:     by_value
      - .address_space:  global
        .offset:         8
        .size:           8
        .value_kind:     global_buffer
      - .actual_access:  write_only
        .address_space:  global
        .offset:         16
        .size:           8
        .value_kind:     global_buffer
      - .actual_access:  read_only
        .address_space:  global
        .offset:         24
        .size:           8
        .value_kind:     global_buffer
      - .offset:         32
        .size:           8
        .value_kind:     by_value
      - .offset:         40
        .size:           28
        .value_kind:     by_value
      - .offset:         68
        .size:           4
        .value_kind:     by_value
      - .offset:         72
        .size:           4
        .value_kind:     hidden_block_count_x
      - .offset:         76
        .size:           4
        .value_kind:     hidden_block_count_y
      - .offset:         80
        .size:           4
        .value_kind:     hidden_block_count_z
      - .offset:         84
        .size:           2
        .value_kind:     hidden_group_size_x
      - .offset:         86
        .size:           2
        .value_kind:     hidden_group_size_y
      - .offset:         88
        .size:           2
        .value_kind:     hidden_group_size_z
      - .offset:         90
        .size:           2
        .value_kind:     hidden_remainder_x
      - .offset:         92
        .size:           2
        .value_kind:     hidden_remainder_y
      - .offset:         94
        .size:           2
        .value_kind:     hidden_remainder_z
      - .offset:         112
        .size:           8
        .value_kind:     hidden_global_offset_x
      - .offset:         120
        .size:           8
        .value_kind:     hidden_global_offset_y
      - .offset:         128
        .size:           8
        .value_kind:     hidden_global_offset_z
      - .offset:         136
        .size:           2
        .value_kind:     hidden_grid_dims
      - .offset:         192
        .size:           4
        .value_kind:     hidden_dynamic_lds_size
    .group_segment_fixed_size: 0
    .kernarg_segment_align: 8
    .kernarg_segment_size: 328
    .language:       OpenCL C
    .language_version:
      - 2
      - 0
    .max_flat_workgroup_size: 1024
    .name:           _Z19hard_treshold_block15HIP_vector_typeIjLj2EEPfS1_PKjS0_6Paramsj
    .private_segment_fixed_size: 0
    .sgpr_count:     46
    .sgpr_spill_count: 0
    .symbol:         _Z19hard_treshold_block15HIP_vector_typeIjLj2EEPfS1_PKjS0_6Paramsj.kd
    .uniform_work_group_size: 1
    .uses_dynamic_stack: false
    .vgpr_count:     23
    .vgpr_spill_count: 0
    .wavefront_size: 64
  - .agpr_count:     0
    .args:
      - .offset:         0
        .size:           8
        .value_kind:     by_value
      - .actual_access:  read_only
        .address_space:  global
        .offset:         8
        .size:           8
        .value_kind:     global_buffer
      - .actual_access:  read_only
        .address_space:  global
        .offset:         16
        .size:           8
        .value_kind:     global_buffer
      - .actual_access:  read_only
        .address_space:  global
        .offset:         24
        .size:           8
        .value_kind:     global_buffer
      - .actual_access:  read_only
        .address_space:  global
        .offset:         32
        .size:           8
        .value_kind:     global_buffer
      - .address_space:  global
        .offset:         40
        .size:           8
        .value_kind:     global_buffer
      - .address_space:  global
        .offset:         48
        .size:           8
        .value_kind:     global_buffer
      - .actual_access:  read_only
        .address_space:  global
        .offset:         56
        .size:           8
        .value_kind:     global_buffer
      - .offset:         64
        .size:           8
        .value_kind:     by_value
      - .offset:         72
        .size:           8
        .value_kind:     by_value
      - .offset:         80
        .size:           28
        .value_kind:     by_value
      - .offset:         112
        .size:           4
        .value_kind:     hidden_block_count_x
      - .offset:         116
        .size:           4
        .value_kind:     hidden_block_count_y
      - .offset:         120
        .size:           4
        .value_kind:     hidden_block_count_z
      - .offset:         124
        .size:           2
        .value_kind:     hidden_group_size_x
      - .offset:         126
        .size:           2
        .value_kind:     hidden_group_size_y
      - .offset:         128
        .size:           2
        .value_kind:     hidden_group_size_z
      - .offset:         130
        .size:           2
        .value_kind:     hidden_remainder_x
      - .offset:         132
        .size:           2
        .value_kind:     hidden_remainder_y
      - .offset:         134
        .size:           2
        .value_kind:     hidden_remainder_z
      - .offset:         152
        .size:           8
        .value_kind:     hidden_global_offset_x
      - .offset:         160
        .size:           8
        .value_kind:     hidden_global_offset_y
      - .offset:         168
        .size:           8
        .value_kind:     hidden_global_offset_z
      - .offset:         176
        .size:           2
        .value_kind:     hidden_grid_dims
    .group_segment_fixed_size: 0
    .kernarg_segment_align: 8
    .kernarg_segment_size: 368
    .language:       OpenCL C
    .language_version:
      - 2
      - 0
    .max_flat_workgroup_size: 1024
    .name:           _Z15aggregate_block15HIP_vector_typeIjLj2EEPKfS2_PKtS2_PfS5_PKjS0_S0_6Params
    .private_segment_fixed_size: 0
    .sgpr_count:     30
    .sgpr_spill_count: 0
    .symbol:         _Z15aggregate_block15HIP_vector_typeIjLj2EEPKfS2_PKtS2_PfS5_PKjS0_S0_6Params.kd
    .uniform_work_group_size: 1
    .uses_dynamic_stack: false
    .vgpr_count:     12
    .vgpr_spill_count: 0
    .wavefront_size: 64
  - .agpr_count:     0
    .args:
      - .actual_access:  read_only
        .address_space:  global
        .offset:         0
        .size:           8
        .value_kind:     global_buffer
      - .actual_access:  read_only
        .address_space:  global
        .offset:         8
        .size:           8
        .value_kind:     global_buffer
      - .offset:         16
        .size:           8
        .value_kind:     by_value
      - .actual_access:  write_only
        .address_space:  global
        .offset:         24
        .size:           8
        .value_kind:     global_buffer
      - .offset:         32
        .size:           4
        .value_kind:     hidden_block_count_x
      - .offset:         36
        .size:           4
        .value_kind:     hidden_block_count_y
      - .offset:         40
        .size:           4
        .value_kind:     hidden_block_count_z
      - .offset:         44
        .size:           2
        .value_kind:     hidden_group_size_x
      - .offset:         46
        .size:           2
        .value_kind:     hidden_group_size_y
      - .offset:         48
        .size:           2
        .value_kind:     hidden_group_size_z
      - .offset:         50
        .size:           2
        .value_kind:     hidden_remainder_x
      - .offset:         52
        .size:           2
        .value_kind:     hidden_remainder_y
      - .offset:         54
        .size:           2
        .value_kind:     hidden_remainder_z
      - .offset:         72
        .size:           8
        .value_kind:     hidden_global_offset_x
      - .offset:         80
        .size:           8
        .value_kind:     hidden_global_offset_y
      - .offset:         88
        .size:           8
        .value_kind:     hidden_global_offset_z
      - .offset:         96
        .size:           2
        .value_kind:     hidden_grid_dims
    .group_segment_fixed_size: 0
    .kernarg_segment_align: 8
    .kernarg_segment_size: 288
    .language:       OpenCL C
    .language_version:
      - 2
      - 0
    .max_flat_workgroup_size: 1024
    .name:           _Z15aggregate_finalPKfS0_15HIP_vector_typeIjLj2EEPh
    .private_segment_fixed_size: 0
    .sgpr_count:     18
    .sgpr_spill_count: 0
    .symbol:         _Z15aggregate_finalPKfS0_15HIP_vector_typeIjLj2EEPh.kd
    .uniform_work_group_size: 1
    .uses_dynamic_stack: false
    .vgpr_count:     8
    .vgpr_spill_count: 0
    .wavefront_size: 64
amdhsa.target:   amdgcn-amd-amdhsa--gfx950
amdhsa.version:
  - 1
  - 2
...

	.end_amdgpu_metadata
